;; amdgpu-corpus repo=ROCm/rocFFT kind=compiled arch=gfx906 opt=O3
	.text
	.amdgcn_target "amdgcn-amd-amdhsa--gfx906"
	.amdhsa_code_object_version 6
	.protected	fft_rtc_back_len26_factors_13_2_wgs_64_tpt_2_halfLds_sp_op_CI_CI_unitstride_sbrr_R2C_dirReg ; -- Begin function fft_rtc_back_len26_factors_13_2_wgs_64_tpt_2_halfLds_sp_op_CI_CI_unitstride_sbrr_R2C_dirReg
	.globl	fft_rtc_back_len26_factors_13_2_wgs_64_tpt_2_halfLds_sp_op_CI_CI_unitstride_sbrr_R2C_dirReg
	.p2align	8
	.type	fft_rtc_back_len26_factors_13_2_wgs_64_tpt_2_halfLds_sp_op_CI_CI_unitstride_sbrr_R2C_dirReg,@function
fft_rtc_back_len26_factors_13_2_wgs_64_tpt_2_halfLds_sp_op_CI_CI_unitstride_sbrr_R2C_dirReg: ; @fft_rtc_back_len26_factors_13_2_wgs_64_tpt_2_halfLds_sp_op_CI_CI_unitstride_sbrr_R2C_dirReg
; %bb.0:
	s_load_dwordx4 s[8:11], s[4:5], 0x58
	s_load_dwordx4 s[12:15], s[4:5], 0x0
	;; [unrolled: 1-line block ×3, first 2 shown]
	v_lshrrev_b32_e32 v7, 1, v0
	v_mov_b32_e32 v3, 0
	v_mov_b32_e32 v1, 0
	s_waitcnt lgkmcnt(0)
	v_cmp_lt_u64_e64 s[0:1], s[14:15], 2
	v_lshl_or_b32 v5, s6, 5, v7
	v_mov_b32_e32 v6, v3
	s_and_b64 vcc, exec, s[0:1]
	v_mov_b32_e32 v2, 0
	s_cbranch_vccnz .LBB0_8
; %bb.1:
	s_load_dwordx2 s[0:1], s[4:5], 0x10
	s_add_u32 s2, s18, 8
	s_addc_u32 s3, s19, 0
	s_add_u32 s6, s16, 8
	v_mov_b32_e32 v1, 0
	s_addc_u32 s7, s17, 0
	v_mov_b32_e32 v2, 0
	s_waitcnt lgkmcnt(0)
	s_add_u32 s20, s0, 8
	v_mov_b32_e32 v17, v2
	s_addc_u32 s21, s1, 0
	s_mov_b64 s[22:23], 1
	v_mov_b32_e32 v16, v1
.LBB0_2:                                ; =>This Inner Loop Header: Depth=1
	s_load_dwordx2 s[24:25], s[20:21], 0x0
                                        ; implicit-def: $vgpr20_vgpr21
	s_waitcnt lgkmcnt(0)
	v_or_b32_e32 v4, s25, v6
	v_cmp_ne_u64_e32 vcc, 0, v[3:4]
	s_and_saveexec_b64 s[0:1], vcc
	s_xor_b64 s[26:27], exec, s[0:1]
	s_cbranch_execz .LBB0_4
; %bb.3:                                ;   in Loop: Header=BB0_2 Depth=1
	v_cvt_f32_u32_e32 v4, s24
	v_cvt_f32_u32_e32 v8, s25
	s_sub_u32 s0, 0, s24
	s_subb_u32 s1, 0, s25
	v_mac_f32_e32 v4, 0x4f800000, v8
	v_rcp_f32_e32 v4, v4
	v_mul_f32_e32 v4, 0x5f7ffffc, v4
	v_mul_f32_e32 v8, 0x2f800000, v4
	v_trunc_f32_e32 v8, v8
	v_mac_f32_e32 v4, 0xcf800000, v8
	v_cvt_u32_f32_e32 v8, v8
	v_cvt_u32_f32_e32 v4, v4
	v_mul_lo_u32 v9, s0, v8
	v_mul_hi_u32 v10, s0, v4
	v_mul_lo_u32 v12, s1, v4
	v_mul_lo_u32 v11, s0, v4
	v_add_u32_e32 v9, v10, v9
	v_add_u32_e32 v9, v9, v12
	v_mul_hi_u32 v10, v4, v11
	v_mul_lo_u32 v12, v4, v9
	v_mul_hi_u32 v14, v4, v9
	v_mul_hi_u32 v13, v8, v11
	v_mul_lo_u32 v11, v8, v11
	v_mul_hi_u32 v15, v8, v9
	v_add_co_u32_e32 v10, vcc, v10, v12
	v_addc_co_u32_e32 v12, vcc, 0, v14, vcc
	v_mul_lo_u32 v9, v8, v9
	v_add_co_u32_e32 v10, vcc, v10, v11
	v_addc_co_u32_e32 v10, vcc, v12, v13, vcc
	v_addc_co_u32_e32 v11, vcc, 0, v15, vcc
	v_add_co_u32_e32 v9, vcc, v10, v9
	v_addc_co_u32_e32 v10, vcc, 0, v11, vcc
	v_add_co_u32_e32 v4, vcc, v4, v9
	v_addc_co_u32_e32 v8, vcc, v8, v10, vcc
	v_mul_lo_u32 v9, s0, v8
	v_mul_hi_u32 v10, s0, v4
	v_mul_lo_u32 v11, s1, v4
	v_mul_lo_u32 v12, s0, v4
	v_add_u32_e32 v9, v10, v9
	v_add_u32_e32 v9, v9, v11
	v_mul_lo_u32 v13, v4, v9
	v_mul_hi_u32 v14, v4, v12
	v_mul_hi_u32 v15, v4, v9
	v_mul_hi_u32 v11, v8, v12
	v_mul_lo_u32 v12, v8, v12
	v_mul_hi_u32 v10, v8, v9
	v_add_co_u32_e32 v13, vcc, v14, v13
	v_addc_co_u32_e32 v14, vcc, 0, v15, vcc
	v_mul_lo_u32 v9, v8, v9
	v_add_co_u32_e32 v12, vcc, v13, v12
	v_addc_co_u32_e32 v11, vcc, v14, v11, vcc
	v_addc_co_u32_e32 v10, vcc, 0, v10, vcc
	v_add_co_u32_e32 v9, vcc, v11, v9
	v_addc_co_u32_e32 v10, vcc, 0, v10, vcc
	v_add_co_u32_e32 v4, vcc, v4, v9
	v_addc_co_u32_e32 v10, vcc, v8, v10, vcc
	v_mad_u64_u32 v[8:9], s[0:1], v5, v10, 0
	v_mul_hi_u32 v11, v5, v4
	v_add_co_u32_e32 v12, vcc, v11, v8
	v_addc_co_u32_e32 v13, vcc, 0, v9, vcc
	v_mad_u64_u32 v[8:9], s[0:1], v6, v4, 0
	v_mad_u64_u32 v[10:11], s[0:1], v6, v10, 0
	v_add_co_u32_e32 v4, vcc, v12, v8
	v_addc_co_u32_e32 v4, vcc, v13, v9, vcc
	v_addc_co_u32_e32 v8, vcc, 0, v11, vcc
	v_add_co_u32_e32 v4, vcc, v4, v10
	v_addc_co_u32_e32 v10, vcc, 0, v8, vcc
	v_mul_lo_u32 v11, s25, v4
	v_mul_lo_u32 v12, s24, v10
	v_mad_u64_u32 v[8:9], s[0:1], s24, v4, 0
	v_add3_u32 v9, v9, v12, v11
	v_sub_u32_e32 v11, v6, v9
	v_mov_b32_e32 v12, s25
	v_sub_co_u32_e32 v8, vcc, v5, v8
	v_subb_co_u32_e64 v11, s[0:1], v11, v12, vcc
	v_subrev_co_u32_e64 v12, s[0:1], s24, v8
	v_subbrev_co_u32_e64 v11, s[0:1], 0, v11, s[0:1]
	v_cmp_le_u32_e64 s[0:1], s25, v11
	v_cndmask_b32_e64 v13, 0, -1, s[0:1]
	v_cmp_le_u32_e64 s[0:1], s24, v12
	v_cndmask_b32_e64 v12, 0, -1, s[0:1]
	v_cmp_eq_u32_e64 s[0:1], s25, v11
	v_cndmask_b32_e64 v11, v13, v12, s[0:1]
	v_add_co_u32_e64 v12, s[0:1], 2, v4
	v_addc_co_u32_e64 v13, s[0:1], 0, v10, s[0:1]
	v_add_co_u32_e64 v14, s[0:1], 1, v4
	v_addc_co_u32_e64 v15, s[0:1], 0, v10, s[0:1]
	v_subb_co_u32_e32 v9, vcc, v6, v9, vcc
	v_cmp_ne_u32_e64 s[0:1], 0, v11
	v_cmp_le_u32_e32 vcc, s25, v9
	v_cndmask_b32_e64 v11, v15, v13, s[0:1]
	v_cndmask_b32_e64 v13, 0, -1, vcc
	v_cmp_le_u32_e32 vcc, s24, v8
	v_cndmask_b32_e64 v8, 0, -1, vcc
	v_cmp_eq_u32_e32 vcc, s25, v9
	v_cndmask_b32_e32 v8, v13, v8, vcc
	v_cmp_ne_u32_e32 vcc, 0, v8
	v_cndmask_b32_e64 v8, v14, v12, s[0:1]
	v_cndmask_b32_e32 v21, v10, v11, vcc
	v_cndmask_b32_e32 v20, v4, v8, vcc
.LBB0_4:                                ;   in Loop: Header=BB0_2 Depth=1
	s_andn2_saveexec_b64 s[0:1], s[26:27]
	s_cbranch_execz .LBB0_6
; %bb.5:                                ;   in Loop: Header=BB0_2 Depth=1
	v_cvt_f32_u32_e32 v4, s24
	s_sub_i32 s26, 0, s24
	v_mov_b32_e32 v21, v3
	v_rcp_iflag_f32_e32 v4, v4
	v_mul_f32_e32 v4, 0x4f7ffffe, v4
	v_cvt_u32_f32_e32 v4, v4
	v_mul_lo_u32 v8, s26, v4
	v_mul_hi_u32 v8, v4, v8
	v_add_u32_e32 v4, v4, v8
	v_mul_hi_u32 v4, v5, v4
	v_mul_lo_u32 v8, v4, s24
	v_add_u32_e32 v9, 1, v4
	v_sub_u32_e32 v8, v5, v8
	v_subrev_u32_e32 v10, s24, v8
	v_cmp_le_u32_e32 vcc, s24, v8
	v_cndmask_b32_e32 v8, v8, v10, vcc
	v_cndmask_b32_e32 v4, v4, v9, vcc
	v_add_u32_e32 v9, 1, v4
	v_cmp_le_u32_e32 vcc, s24, v8
	v_cndmask_b32_e32 v20, v4, v9, vcc
.LBB0_6:                                ;   in Loop: Header=BB0_2 Depth=1
	s_or_b64 exec, exec, s[0:1]
	v_mul_lo_u32 v4, v21, s24
	v_mul_lo_u32 v10, v20, s25
	v_mad_u64_u32 v[8:9], s[0:1], v20, s24, 0
	s_load_dwordx2 s[0:1], s[6:7], 0x0
	s_load_dwordx2 s[24:25], s[2:3], 0x0
	v_add3_u32 v4, v9, v10, v4
	v_sub_co_u32_e32 v5, vcc, v5, v8
	v_subb_co_u32_e32 v4, vcc, v6, v4, vcc
	s_waitcnt lgkmcnt(0)
	v_mul_lo_u32 v6, s0, v4
	v_mul_lo_u32 v8, s1, v5
	v_mad_u64_u32 v[1:2], s[0:1], s0, v5, v[1:2]
	v_mul_lo_u32 v4, s24, v4
	v_mul_lo_u32 v9, s25, v5
	v_mad_u64_u32 v[16:17], s[0:1], s24, v5, v[16:17]
	s_add_u32 s22, s22, 1
	s_addc_u32 s23, s23, 0
	s_add_u32 s2, s2, 8
	v_add3_u32 v17, v9, v17, v4
	s_addc_u32 s3, s3, 0
	v_mov_b32_e32 v4, s14
	s_add_u32 s6, s6, 8
	v_mov_b32_e32 v5, s15
	s_addc_u32 s7, s7, 0
	v_cmp_ge_u64_e32 vcc, s[22:23], v[4:5]
	s_add_u32 s20, s20, 8
	v_add3_u32 v2, v8, v2, v6
	s_addc_u32 s21, s21, 0
	s_cbranch_vccnz .LBB0_9
; %bb.7:                                ;   in Loop: Header=BB0_2 Depth=1
	v_mov_b32_e32 v5, v20
	v_mov_b32_e32 v6, v21
	s_branch .LBB0_2
.LBB0_8:
	v_mov_b32_e32 v17, v2
	v_mov_b32_e32 v21, v6
	;; [unrolled: 1-line block ×4, first 2 shown]
.LBB0_9:
	s_load_dwordx2 s[0:1], s[4:5], 0x28
	s_lshl_b64 s[6:7], s[14:15], 3
	s_add_u32 s2, s18, s6
	s_addc_u32 s3, s19, s7
	v_and_b32_e32 v18, 1, v0
	s_waitcnt lgkmcnt(0)
	v_cmp_gt_u64_e32 vcc, s[0:1], v[20:21]
	v_cmp_le_u64_e64 s[0:1], s[0:1], v[20:21]
                                        ; implicit-def: $vgpr28
                                        ; implicit-def: $vgpr25
                                        ; implicit-def: $vgpr27
                                        ; implicit-def: $vgpr22
                                        ; implicit-def: $vgpr24
	s_and_saveexec_b64 s[4:5], s[0:1]
	s_xor_b64 s[0:1], exec, s[4:5]
; %bb.10:
	v_and_b32_e32 v18, 1, v0
	v_or_b32_e32 v28, 2, v18
	v_or_b32_e32 v25, 4, v18
	;; [unrolled: 1-line block ×5, first 2 shown]
                                        ; implicit-def: $vgpr1_vgpr2
; %bb.11:
	s_or_saveexec_b64 s[4:5], s[0:1]
	v_mul_u32_u24_e32 v0, 27, v7
	v_lshlrev_b32_e32 v0, 3, v0
	s_xor_b64 exec, exec, s[4:5]
	s_cbranch_execz .LBB0_13
; %bb.12:
	s_add_u32 s0, s16, s6
	s_addc_u32 s1, s17, s7
	s_load_dwordx2 s[0:1], s[0:1], 0x0
	v_mov_b32_e32 v7, s9
	v_lshlrev_b64 v[1:2], 3, v[1:2]
	v_lshlrev_b32_e32 v15, 3, v18
	v_or_b32_e32 v28, 2, v18
	s_waitcnt lgkmcnt(0)
	v_mul_lo_u32 v5, s1, v20
	v_mul_lo_u32 v6, s0, v21
	v_mad_u64_u32 v[3:4], s[0:1], s0, v20, 0
	v_or_b32_e32 v25, 4, v18
	v_or_b32_e32 v27, 6, v18
	v_add3_u32 v4, v4, v6, v5
	v_lshlrev_b64 v[3:4], 3, v[3:4]
	v_or_b32_e32 v22, 8, v18
	v_add_co_u32_e64 v3, s[0:1], s8, v3
	v_addc_co_u32_e64 v4, s[0:1], v7, v4, s[0:1]
	v_add_co_u32_e64 v1, s[0:1], v3, v1
	v_addc_co_u32_e64 v2, s[0:1], v4, v2, s[0:1]
	v_add_co_u32_e64 v1, s[0:1], v1, v15
	v_addc_co_u32_e64 v2, s[0:1], 0, v2, s[0:1]
	global_load_dwordx2 v[3:4], v[1:2], off
	global_load_dwordx2 v[5:6], v[1:2], off offset:16
	global_load_dwordx2 v[7:8], v[1:2], off offset:32
	;; [unrolled: 1-line block ×12, first 2 shown]
	v_or_b32_e32 v24, 10, v18
	v_add3_u32 v1, 0, v0, v15
	s_waitcnt vmcnt(11)
	ds_write2_b64 v1, v[3:4], v[5:6] offset1:2
	s_waitcnt vmcnt(9)
	ds_write2_b64 v1, v[7:8], v[9:10] offset0:4 offset1:6
	s_waitcnt vmcnt(7)
	ds_write2_b64 v1, v[11:12], v[13:14] offset0:8 offset1:10
	;; [unrolled: 2-line block ×5, first 2 shown]
	s_waitcnt vmcnt(0)
	ds_write_b64 v1, v[41:42] offset:192
.LBB0_13:
	s_or_b64 exec, exec, s[4:5]
	v_add_u32_e32 v49, 0, v0
	v_lshlrev_b32_e32 v51, 3, v18
	v_add_u32_e32 v50, v49, v51
	s_load_dwordx2 s[8:9], s[2:3], 0x0
	s_waitcnt lgkmcnt(0)
	; wave barrier
	s_waitcnt lgkmcnt(0)
	ds_read_b64 v[14:15], v50
	v_add3_u32 v52, 0, v51, v0
	ds_read2_b64 v[10:13], v52 offset0:2 offset1:4
	ds_read2_b64 v[29:32], v52 offset0:6 offset1:8
	ds_read2_b64 v[0:3], v52 offset0:10 offset1:12
	ds_read2_b64 v[4:7], v52 offset0:14 offset1:16
	ds_read2_b64 v[33:36], v52 offset0:18 offset1:20
	ds_read2_b64 v[37:40], v52 offset0:22 offset1:24
	s_mov_b32 s0, 0x3f62ad3f
	s_mov_b32 s3, 0x3f116cb1
	s_waitcnt lgkmcnt(5)
	v_add_f32_e32 v9, v15, v11
	v_add_f32_e32 v8, v14, v10
	v_add_f32_e32 v9, v9, v13
	v_add_f32_e32 v8, v8, v12
	s_waitcnt lgkmcnt(4)
	v_add_f32_e32 v9, v9, v30
	v_add_f32_e32 v8, v8, v29
	v_add_f32_e32 v9, v9, v32
	v_add_f32_e32 v8, v8, v31
	;; [unrolled: 5-line block ×5, first 2 shown]
	s_waitcnt lgkmcnt(0)
	v_add_f32_e32 v9, v9, v38
	v_add_f32_e32 v23, v40, v11
	v_sub_f32_e32 v11, v11, v40
	v_add_f32_e32 v8, v8, v37
	v_add_f32_e32 v9, v9, v40
	v_mul_f32_e32 v26, 0xbeedf032, v11
	v_add_f32_e32 v40, v37, v12
	v_sub_f32_e32 v12, v12, v37
	v_add_f32_e32 v37, v35, v29
	v_sub_f32_e32 v29, v29, v35
	;; [unrolled: 2-line block ×3, first 2 shown]
	v_mul_f32_e32 v33, 0xbf52af12, v11
	v_mul_f32_e32 v42, 0xbf7e222b, v11
	;; [unrolled: 1-line block ×5, first 2 shown]
	v_add_f32_e32 v8, v8, v39
	v_add_f32_e32 v19, v39, v10
	v_sub_f32_e32 v10, v10, v39
	v_mov_b32_e32 v39, v26
	v_add_f32_e32 v41, v38, v13
	v_sub_f32_e32 v13, v13, v38
	v_add_f32_e32 v38, v36, v30
	v_sub_f32_e32 v30, v30, v36
	;; [unrolled: 2-line block ×3, first 2 shown]
	v_mov_b32_e32 v34, v33
	s_mov_b32 s1, 0x3df6dbef
	v_mov_b32_e32 v43, v42
	s_mov_b32 s2, 0xbeb58ec6
	;; [unrolled: 2-line block ×4, first 2 shown]
	v_mov_b32_e32 v48, v11
	v_fmac_f32_e32 v39, 0x3f62ad3f, v19
	v_fma_f32 v26, v19, s0, -v26
	v_fmac_f32_e32 v34, 0x3f116cb1, v19
	v_fma_f32 v33, v19, s3, -v33
	;; [unrolled: 2-line block ×6, first 2 shown]
	v_mul_f32_e32 v19, 0x3f62ad3f, v23
	v_mul_f32_e32 v54, 0x3f116cb1, v23
	;; [unrolled: 1-line block ×6, first 2 shown]
	v_mov_b32_e32 v53, v19
	v_mov_b32_e32 v55, v54
	v_mov_b32_e32 v57, v56
	v_mov_b32_e32 v59, v58
	v_mov_b32_e32 v61, v60
	v_mov_b32_e32 v62, v23
	v_fmac_f32_e32 v53, 0x3eedf032, v10
	v_fmac_f32_e32 v19, 0xbeedf032, v10
	v_fmac_f32_e32 v55, 0x3f52af12, v10
	v_fmac_f32_e32 v54, 0xbf52af12, v10
	v_fmac_f32_e32 v57, 0x3f7e222b, v10
	v_fmac_f32_e32 v56, 0xbf7e222b, v10
	v_fmac_f32_e32 v59, 0x3f6f5d39, v10
	v_fmac_f32_e32 v58, 0xbf6f5d39, v10
	v_fmac_f32_e32 v61, 0x3f29c268, v10
	v_fmac_f32_e32 v60, 0xbf29c268, v10
	v_fmac_f32_e32 v62, 0x3e750f2a, v10
	v_fmac_f32_e32 v23, 0xbe750f2a, v10
	v_add_f32_e32 v10, v14, v39
	v_add_f32_e32 v39, v15, v53
	;; [unrolled: 1-line block ×24, first 2 shown]
	v_mul_f32_e32 v15, 0xbf52af12, v13
	v_mov_b32_e32 v23, v15
	v_fmac_f32_e32 v23, 0x3f116cb1, v40
	v_add_f32_e32 v10, v23, v10
	v_mul_f32_e32 v23, 0x3f116cb1, v41
	v_mov_b32_e32 v62, v23
	v_fmac_f32_e32 v23, 0xbf52af12, v12
	v_fma_f32 v15, v40, s3, -v15
	v_add_f32_e32 v19, v23, v19
	v_mul_f32_e32 v23, 0xbf6f5d39, v13
	v_add_f32_e32 v15, v15, v26
	v_mov_b32_e32 v26, v23
	v_fmac_f32_e32 v26, 0xbeb58ec6, v40
	v_fmac_f32_e32 v62, 0x3f52af12, v12
	v_add_f32_e32 v26, v26, v34
	v_mul_f32_e32 v34, 0xbeb58ec6, v41
	v_add_f32_e32 v39, v62, v39
	v_mov_b32_e32 v62, v34
	v_fma_f32 v23, v40, s2, -v23
	v_fmac_f32_e32 v34, 0xbf6f5d39, v12
	v_add_f32_e32 v23, v23, v33
	v_add_f32_e32 v33, v34, v54
	v_mul_f32_e32 v34, 0xbe750f2a, v13
	v_mov_b32_e32 v54, v34
	v_fmac_f32_e32 v54, 0xbf788fa5, v40
	v_fmac_f32_e32 v62, 0x3f6f5d39, v12
	v_add_f32_e32 v43, v54, v43
	v_mul_f32_e32 v54, 0xbf788fa5, v41
	v_add_f32_e32 v53, v62, v53
	v_mov_b32_e32 v62, v54
	v_fma_f32 v34, v40, s5, -v34
	v_fmac_f32_e32 v54, 0xbe750f2a, v12
	v_add_f32_e32 v34, v34, v42
	v_add_f32_e32 v42, v54, v56
	v_mul_f32_e32 v54, 0x3f29c268, v13
	;; [unrolled: 12-line block ×3, first 2 shown]
	v_mov_b32_e32 v58, v56
	v_fmac_f32_e32 v58, 0x3df6dbef, v40
	v_fmac_f32_e32 v62, 0xbf29c268, v12
	v_add_f32_e32 v47, v58, v47
	v_mul_f32_e32 v58, 0x3df6dbef, v41
	v_add_f32_e32 v57, v62, v57
	v_mov_b32_e32 v62, v58
	v_fma_f32 v56, v40, s1, -v56
	v_fmac_f32_e32 v58, 0x3f7e222b, v12
	v_mul_f32_e32 v13, 0x3eedf032, v13
	v_add_f32_e32 v46, v56, v46
	v_add_f32_e32 v56, v58, v60
	v_mov_b32_e32 v58, v13
	v_fmac_f32_e32 v58, 0x3f62ad3f, v40
	v_mul_f32_e32 v41, 0x3f62ad3f, v41
	v_fma_f32 v13, v40, s0, -v13
	v_add_f32_e32 v48, v58, v48
	v_mov_b32_e32 v58, v41
	v_add_f32_e32 v11, v13, v11
	v_fmac_f32_e32 v41, 0x3eedf032, v12
	v_mul_f32_e32 v13, 0xbf7e222b, v30
	v_fmac_f32_e32 v62, 0xbf7e222b, v12
	v_fmac_f32_e32 v58, 0xbeedf032, v12
	v_add_f32_e32 v12, v41, v14
	v_mov_b32_e32 v14, v13
	v_fmac_f32_e32 v14, 0x3df6dbef, v37
	v_add_f32_e32 v10, v14, v10
	v_mul_f32_e32 v14, 0x3df6dbef, v38
	v_fma_f32 v13, v37, s1, -v13
	v_mov_b32_e32 v40, v14
	v_add_f32_e32 v13, v13, v15
	v_fmac_f32_e32 v14, 0xbf7e222b, v29
	v_mul_f32_e32 v15, 0xbe750f2a, v30
	v_add_f32_e32 v14, v14, v19
	v_mov_b32_e32 v19, v15
	v_fmac_f32_e32 v19, 0xbf788fa5, v37
	v_fmac_f32_e32 v40, 0x3f7e222b, v29
	v_add_f32_e32 v19, v19, v26
	v_mul_f32_e32 v26, 0xbf788fa5, v38
	v_add_f32_e32 v39, v40, v39
	v_mov_b32_e32 v40, v26
	v_fma_f32 v15, v37, s5, -v15
	v_fmac_f32_e32 v26, 0xbe750f2a, v29
	v_add_f32_e32 v15, v15, v23
	v_add_f32_e32 v23, v26, v33
	v_mul_f32_e32 v26, 0x3f6f5d39, v30
	v_mov_b32_e32 v33, v26
	v_fmac_f32_e32 v33, 0xbeb58ec6, v37
	v_mul_f32_e32 v41, 0xbeb58ec6, v38
	v_add_f32_e32 v33, v33, v43
	v_mov_b32_e32 v43, v41
	v_fma_f32 v26, v37, s2, -v26
	v_fmac_f32_e32 v41, 0x3f6f5d39, v29
	v_add_f32_e32 v26, v26, v34
	v_add_f32_e32 v34, v41, v42
	v_mul_f32_e32 v41, 0x3eedf032, v30
	v_mov_b32_e32 v42, v41
	v_fmac_f32_e32 v42, 0x3f62ad3f, v37
	v_fmac_f32_e32 v40, 0x3e750f2a, v29
	v_add_f32_e32 v42, v42, v45
	v_mul_f32_e32 v45, 0x3f62ad3f, v38
	v_add_f32_e32 v40, v40, v53
	v_mov_b32_e32 v53, v45
	v_fma_f32 v41, v37, s0, -v41
	v_fmac_f32_e32 v45, 0x3eedf032, v29
	v_add_f32_e32 v41, v41, v44
	v_add_f32_e32 v44, v45, v54
	v_mul_f32_e32 v45, 0xbf52af12, v30
	v_mov_b32_e32 v54, v45
	v_fmac_f32_e32 v54, 0x3f116cb1, v37
	v_fmac_f32_e32 v43, 0xbf6f5d39, v29
	v_add_f32_e32 v47, v54, v47
	v_mul_f32_e32 v54, 0x3f116cb1, v38
	v_add_f32_e32 v43, v43, v55
	v_mov_b32_e32 v55, v54
	v_fma_f32 v45, v37, s3, -v45
	v_fmac_f32_e32 v54, 0xbf52af12, v29
	v_mul_f32_e32 v30, 0xbf29c268, v30
	v_add_f32_e32 v45, v45, v46
	v_add_f32_e32 v46, v54, v56
	v_mov_b32_e32 v54, v30
	v_fmac_f32_e32 v54, 0xbf3f9e67, v37
	v_mul_f32_e32 v38, 0xbf3f9e67, v38
	v_add_f32_e32 v48, v54, v48
	v_mov_b32_e32 v54, v38
	v_fmac_f32_e32 v53, 0xbeedf032, v29
	v_fmac_f32_e32 v55, 0x3f52af12, v29
	v_fmac_f32_e32 v54, 0x3f29c268, v29
	v_fma_f32 v30, v37, s4, -v30
	v_fmac_f32_e32 v38, 0xbf29c268, v29
	v_mul_f32_e32 v29, 0xbf6f5d39, v32
	v_add_f32_e32 v11, v30, v11
	v_mov_b32_e32 v30, v29
	v_fmac_f32_e32 v30, 0xbeb58ec6, v35
	v_add_f32_e32 v10, v30, v10
	v_mul_f32_e32 v30, 0xbeb58ec6, v36
	v_fma_f32 v29, v35, s2, -v29
	v_mov_b32_e32 v37, v30
	v_add_f32_e32 v13, v29, v13
	v_fmac_f32_e32 v30, 0xbf6f5d39, v31
	v_mul_f32_e32 v29, 0x3f29c268, v32
	v_add_f32_e32 v14, v30, v14
	v_mov_b32_e32 v30, v29
	v_fmac_f32_e32 v30, 0xbf3f9e67, v35
	v_add_f32_e32 v19, v30, v19
	v_mul_f32_e32 v30, 0xbf3f9e67, v36
	v_fma_f32 v29, v35, s4, -v29
	v_add_f32_e32 v12, v38, v12
	v_mov_b32_e32 v38, v30
	v_add_f32_e32 v15, v29, v15
	v_fmac_f32_e32 v30, 0x3f29c268, v31
	v_mul_f32_e32 v29, 0x3eedf032, v32
	v_add_f32_e32 v23, v30, v23
	v_mov_b32_e32 v30, v29
	v_fmac_f32_e32 v30, 0x3f62ad3f, v35
	v_fmac_f32_e32 v37, 0x3f6f5d39, v31
	v_add_f32_e32 v30, v30, v33
	v_mul_f32_e32 v33, 0x3f62ad3f, v36
	v_add_f32_e32 v37, v37, v39
	v_mov_b32_e32 v39, v33
	v_fma_f32 v29, v35, s0, -v29
	v_fmac_f32_e32 v33, 0x3eedf032, v31
	v_add_f32_e32 v26, v29, v26
	v_add_f32_e32 v29, v33, v34
	v_mul_f32_e32 v33, 0xbf7e222b, v32
	v_fmac_f32_e32 v38, 0xbf29c268, v31
	v_mov_b32_e32 v34, v33
	v_fma_f32 v33, v35, s1, -v33
	v_add_f32_e32 v38, v38, v40
	v_fmac_f32_e32 v39, 0xbeedf032, v31
	v_fmac_f32_e32 v34, 0x3df6dbef, v35
	v_mul_f32_e32 v40, 0x3df6dbef, v36
	v_add_f32_e32 v33, v33, v41
	v_mul_f32_e32 v41, 0x3e750f2a, v32
	v_add_f32_e32 v39, v39, v43
	v_add_f32_e32 v34, v34, v42
	v_mov_b32_e32 v42, v40
	v_fmac_f32_e32 v40, 0xbf7e222b, v31
	v_mov_b32_e32 v43, v41
	v_add_f32_e32 v40, v40, v44
	v_fmac_f32_e32 v43, 0xbf788fa5, v35
	v_mul_f32_e32 v44, 0xbf788fa5, v36
	v_fma_f32 v41, v35, s5, -v41
	v_mul_f32_e32 v32, 0x3f52af12, v32
	v_add_f32_e32 v43, v43, v47
	v_mov_b32_e32 v47, v44
	v_add_f32_e32 v41, v41, v45
	v_fmac_f32_e32 v44, 0x3e750f2a, v31
	v_mov_b32_e32 v45, v32
	v_mul_f32_e32 v36, 0x3f116cb1, v36
	v_fma_f32 v32, v35, s3, -v32
	v_add_f32_e32 v44, v44, v46
	v_mov_b32_e32 v46, v36
	v_add_f32_e32 v11, v32, v11
	v_sub_f32_e32 v32, v1, v7
	v_add_f32_e32 v1, v7, v1
	v_fmac_f32_e32 v42, 0x3f7e222b, v31
	v_fmac_f32_e32 v47, 0xbe750f2a, v31
	;; [unrolled: 1-line block ×4, first 2 shown]
	v_add_f32_e32 v31, v6, v0
	v_sub_f32_e32 v0, v0, v6
	v_mul_f32_e32 v6, 0xbf3f9e67, v1
	v_fmac_f32_e32 v45, 0x3f116cb1, v35
	v_mul_f32_e32 v35, 0xbf29c268, v32
	v_mov_b32_e32 v7, v6
	v_fmac_f32_e32 v6, 0xbf29c268, v0
	v_add_f32_e32 v12, v36, v12
	v_mov_b32_e32 v36, v35
	v_fma_f32 v35, v31, s4, -v35
	v_add_f32_e32 v6, v6, v14
	v_mul_f32_e32 v14, 0x3f7e222b, v32
	v_add_f32_e32 v13, v35, v13
	v_mov_b32_e32 v35, v14
	v_fmac_f32_e32 v35, 0x3df6dbef, v31
	v_fmac_f32_e32 v36, 0xbf3f9e67, v31
	v_add_f32_e32 v19, v35, v19
	v_mul_f32_e32 v35, 0x3df6dbef, v1
	v_add_f32_e32 v10, v36, v10
	v_mov_b32_e32 v36, v35
	v_fma_f32 v14, v31, s1, -v14
	v_fmac_f32_e32 v35, 0x3f7e222b, v0
	v_add_f32_e32 v14, v14, v15
	v_add_f32_e32 v15, v35, v23
	v_mul_f32_e32 v23, 0xbf52af12, v32
	v_mov_b32_e32 v35, v23
	v_fmac_f32_e32 v35, 0x3f116cb1, v31
	v_fmac_f32_e32 v7, 0x3f29c268, v0
	v_add_f32_e32 v30, v35, v30
	v_mul_f32_e32 v35, 0x3f116cb1, v1
	v_add_f32_e32 v7, v7, v37
	v_mov_b32_e32 v37, v35
	v_fma_f32 v23, v31, s3, -v23
	v_fmac_f32_e32 v35, 0xbf52af12, v0
	v_add_f32_e32 v23, v23, v26
	v_add_f32_e32 v26, v35, v29
	v_mul_f32_e32 v29, 0x3e750f2a, v32
	v_mov_b32_e32 v35, v29
	v_fmac_f32_e32 v35, 0xbf788fa5, v31
	v_fmac_f32_e32 v36, 0xbf7e222b, v0
	v_add_f32_e32 v34, v35, v34
	v_mul_f32_e32 v35, 0xbf788fa5, v1
	v_add_f32_e32 v36, v36, v38
	v_mov_b32_e32 v38, v35
	v_fma_f32 v29, v31, s5, -v29
	v_fmac_f32_e32 v35, 0x3e750f2a, v0
	v_fmac_f32_e32 v37, 0x3f52af12, v0
	v_add_f32_e32 v29, v29, v33
	v_add_f32_e32 v33, v35, v40
	v_mul_f32_e32 v35, 0x3eedf032, v32
	v_add_f32_e32 v53, v53, v57
	v_add_f32_e32 v37, v37, v39
	v_mov_b32_e32 v39, v35
	v_add_f32_e32 v58, v58, v61
	v_add_f32_e32 v42, v42, v53
	v_fmac_f32_e32 v38, 0xbe750f2a, v0
	v_fmac_f32_e32 v39, 0x3f62ad3f, v31
	v_mul_f32_e32 v40, 0x3f62ad3f, v1
	v_fma_f32 v35, v31, s0, -v35
	v_mul_f32_e32 v32, 0xbf6f5d39, v32
	v_mul_f32_e32 v1, 0xbeb58ec6, v1
	v_add_f32_e32 v59, v62, v59
	v_add_f32_e32 v54, v54, v58
	;; [unrolled: 1-line block ×4, first 2 shown]
	v_mov_b32_e32 v42, v40
	v_add_f32_e32 v35, v35, v41
	v_mov_b32_e32 v41, v32
	v_mov_b32_e32 v43, v1
	v_sub_f32_e32 v53, v3, v5
	v_add_f32_e32 v55, v55, v59
	v_add_f32_e32 v45, v45, v48
	v_add_f32_e32 v46, v46, v54
	v_fmac_f32_e32 v42, 0xbeedf032, v0
	v_fmac_f32_e32 v40, 0x3eedf032, v0
	;; [unrolled: 1-line block ×5, first 2 shown]
	v_mul_f32_e32 v0, 0xbe750f2a, v53
	v_add_f32_e32 v47, v47, v55
	v_add_f32_e32 v41, v41, v45
	;; [unrolled: 1-line block ×5, first 2 shown]
	v_mov_b32_e32 v1, v0
	v_add_f32_e32 v42, v42, v47
	v_add_f32_e32 v47, v5, v3
	v_fmac_f32_e32 v1, 0xbf788fa5, v46
	v_sub_f32_e32 v48, v2, v4
	v_add_f32_e32 v4, v1, v10
	v_mul_f32_e32 v1, 0xbf788fa5, v47
	v_mov_b32_e32 v2, v1
	v_fmac_f32_e32 v2, 0x3e750f2a, v48
	v_add_f32_e32 v5, v2, v7
	v_mul_f32_e32 v2, 0x3eedf032, v53
	v_mov_b32_e32 v3, v2
	v_fmac_f32_e32 v1, 0xbe750f2a, v48
	v_fmac_f32_e32 v3, 0x3f62ad3f, v46
	v_mul_f32_e32 v12, 0xbf29c268, v53
	v_add_f32_e32 v1, v1, v6
	v_add_f32_e32 v6, v3, v19
	v_mul_f32_e32 v3, 0x3f62ad3f, v47
	v_fma_f32 v2, v46, s0, -v2
	v_mov_b32_e32 v10, v12
	v_fma_f32 v12, v46, s4, -v12
	v_mul_f32_e32 v19, 0x3f52af12, v53
	v_mov_b32_e32 v7, v3
	v_add_f32_e32 v2, v2, v14
	v_fmac_f32_e32 v3, 0x3eedf032, v48
	v_add_f32_e32 v12, v12, v23
	v_mov_b32_e32 v14, v19
	v_mul_f32_e32 v23, 0x3f116cb1, v47
	v_fma_f32 v19, v46, s3, -v19
	v_add_f32_e32 v3, v3, v15
	v_fmac_f32_e32 v10, 0xbf3f9e67, v46
	v_mov_b32_e32 v15, v23
	v_add_f32_e32 v29, v19, v29
	v_fmac_f32_e32 v23, 0x3f52af12, v48
	v_mul_f32_e32 v19, 0xbf6f5d39, v53
	v_fma_f32 v0, v46, s5, -v0
	v_add_f32_e32 v10, v10, v30
	v_add_f32_e32 v30, v23, v33
	v_mov_b32_e32 v23, v19
	v_fma_f32 v31, v31, s2, -v32
	v_add_f32_e32 v0, v0, v13
	v_mul_f32_e32 v13, 0xbf3f9e67, v47
	v_fmac_f32_e32 v23, 0xbeb58ec6, v46
	v_add_f32_e32 v40, v40, v44
	v_add_f32_e32 v44, v31, v11
	v_mov_b32_e32 v11, v13
	v_fmac_f32_e32 v13, 0xbf29c268, v48
	v_add_f32_e32 v31, v23, v39
	v_mul_f32_e32 v23, 0xbeb58ec6, v47
	v_fma_f32 v19, v46, s2, -v19
	v_add_f32_e32 v13, v13, v26
	v_fmac_f32_e32 v14, 0x3f116cb1, v46
	v_mov_b32_e32 v26, v23
	v_add_f32_e32 v33, v19, v35
	v_fmac_f32_e32 v23, 0xbf6f5d39, v48
	v_mul_f32_e32 v19, 0x3f7e222b, v53
	v_add_f32_e32 v14, v14, v34
	v_add_f32_e32 v34, v23, v40
	v_mov_b32_e32 v23, v19
	v_fmac_f32_e32 v23, 0x3df6dbef, v46
	v_fmac_f32_e32 v26, 0x3f6f5d39, v48
	v_add_f32_e32 v35, v23, v41
	v_mul_f32_e32 v23, 0x3df6dbef, v47
	v_add_f32_e32 v32, v26, v42
	v_mov_b32_e32 v26, v23
	v_fmac_f32_e32 v7, 0xbeedf032, v48
	v_fmac_f32_e32 v11, 0x3f29c268, v48
	;; [unrolled: 1-line block ×4, first 2 shown]
	v_fma_f32 v19, v46, s1, -v19
	v_fmac_f32_e32 v23, 0x3f7e222b, v48
	s_movk_i32 s0, 0x68
	v_add_f32_e32 v7, v7, v36
	v_add_f32_e32 v11, v11, v37
	;; [unrolled: 1-line block ×6, first 2 shown]
	v_mad_u32_u24 v19, v18, s0, v49
	s_waitcnt lgkmcnt(0)
	; wave barrier
	ds_write2_b64 v19, v[8:9], v[4:5] offset1:1
	ds_write2_b64 v19, v[6:7], v[10:11] offset0:2 offset1:3
	ds_write2_b64 v19, v[14:15], v[31:32] offset0:4 offset1:5
	;; [unrolled: 1-line block ×5, first 2 shown]
	ds_write_b64 v19, v[0:1] offset:96
	s_waitcnt lgkmcnt(0)
	; wave barrier
	s_waitcnt lgkmcnt(0)
	ds_read2_b64 v[12:15], v52 offset0:13 offset1:15
	ds_read2_b64 v[8:11], v52 offset0:17 offset1:19
	v_lshl_add_u32 v57, v28, 3, v49
	v_lshl_add_u32 v56, v25, 3, v49
	;; [unrolled: 1-line block ×3, first 2 shown]
	ds_read_b64 v[47:48], v50
	ds_read_b64 v[39:40], v57
	ds_read_b64 v[37:38], v56
	ds_read_b64 v[35:36], v55
	v_lshl_add_u32 v54, v22, 3, v49
	ds_read2_b64 v[4:7], v52 offset0:21 offset1:23
	v_lshl_add_u32 v53, v24, 3, v49
	ds_read_b64 v[43:44], v54
	ds_read_b64 v[41:42], v53
	v_cmp_ne_u32_e64 s[2:3], 0, v18
	v_mov_b32_e32 v45, 0
	v_cmp_eq_u32_e64 s[0:1], 0, v18
	v_mov_b32_e32 v46, 0
	s_and_saveexec_b64 s[4:5], s[0:1]
	s_cbranch_execz .LBB0_15
; %bb.14:
	ds_read2_b64 v[0:3], v49 offset0:12 offset1:25
	v_mov_b32_e32 v45, 12
	v_mov_b32_e32 v46, 0
.LBB0_15:
	s_or_b64 exec, exec, s[4:5]
	v_mov_b32_e32 v19, 0
	v_lshlrev_b64 v[29:30], 3, v[18:19]
	v_mov_b32_e32 v46, s13
	v_add_co_u32_e64 v33, s[4:5], s12, v29
	v_addc_co_u32_e64 v34, s[4:5], v46, v30, s[4:5]
	global_load_dwordx2 v[58:59], v[33:34], off
	v_mov_b32_e32 v29, v19
	v_lshlrev_b64 v[29:30], 3, v[28:29]
	v_mov_b32_e32 v26, v19
	v_add_co_u32_e64 v29, s[4:5], s12, v29
	v_addc_co_u32_e64 v30, s[4:5], v46, v30, s[4:5]
	global_load_dwordx2 v[60:61], v[29:30], off
	v_mov_b32_e32 v28, v19
	v_lshlrev_b64 v[31:32], 3, v[25:26]
	v_lshlrev_b64 v[27:28], 3, v[27:28]
	v_add_co_u32_e64 v26, s[4:5], s12, v31
	v_add_co_u32_e64 v31, s[6:7], s12, v27
	v_addc_co_u32_e64 v27, s[4:5], v46, v32, s[4:5]
	global_load_dwordx2 v[62:63], v[26:27], off
	v_addc_co_u32_e64 v32, s[4:5], v46, v28, s[6:7]
	v_mov_b32_e32 v25, v19
	s_waitcnt vmcnt(2) lgkmcnt(8)
	v_mul_f32_e32 v28, v59, v13
	v_mul_f32_e32 v23, v59, v12
	v_fmac_f32_e32 v28, v58, v12
	v_fma_f32 v64, v58, v13, -v23
	global_load_dwordx2 v[58:59], v[31:32], off
	v_mov_b32_e32 v23, v19
	s_waitcnt vmcnt(2)
	v_mul_f32_e32 v65, v61, v15
	v_mul_f32_e32 v12, v61, v14
	v_fmac_f32_e32 v65, v60, v14
	v_fma_f32 v60, v60, v15, -v12
	v_lshlrev_b64 v[12:13], 3, v[22:23]
	v_lshlrev_b64 v[22:23], 3, v[24:25]
	v_add_co_u32_e64 v14, s[4:5], s12, v12
	v_add_co_u32_e64 v12, s[6:7], s12, v22
	v_addc_co_u32_e64 v15, s[4:5], v46, v13, s[4:5]
	v_addc_co_u32_e64 v13, s[4:5], v46, v23, s[6:7]
	global_load_dwordx2 v[22:23], v[14:15], off
	s_waitcnt vmcnt(2) lgkmcnt(7)
	v_mul_f32_e32 v19, v63, v9
	v_mul_f32_e32 v24, v63, v8
	v_fmac_f32_e32 v19, v62, v8
	v_fma_f32 v24, v62, v9, -v24
	s_waitcnt vmcnt(1)
	v_mul_f32_e32 v8, v59, v10
	v_fma_f32 v46, v58, v11, -v8
	global_load_dwordx2 v[8:9], v[12:13], off
	v_mul_f32_e32 v25, v59, v11
	v_fmac_f32_e32 v25, v58, v10
	s_waitcnt lgkmcnt(4)
	v_sub_f32_e32 v11, v38, v24
	v_fma_f32 v38, v38, 2.0, -v11
	s_waitcnt lgkmcnt(0)
	; wave barrier
	s_waitcnt vmcnt(1) lgkmcnt(0)
	v_mul_f32_e32 v58, v23, v5
	v_mul_f32_e32 v10, v23, v4
	v_fmac_f32_e32 v58, v22, v4
	v_fma_f32 v61, v22, v5, -v10
	v_sub_f32_e32 v4, v47, v28
	v_sub_f32_e32 v5, v48, v64
	;; [unrolled: 1-line block ×7, first 2 shown]
	v_fma_f32 v37, v37, 2.0, -v10
	v_fma_f32 v35, v35, 2.0, -v22
	v_fma_f32 v36, v36, 2.0, -v23
	v_fma_f32 v43, v43, 2.0, -v24
	v_fma_f32 v44, v44, 2.0, -v25
	s_waitcnt vmcnt(0)
	v_mul_f32_e32 v59, v9, v7
	v_mul_f32_e32 v9, v9, v6
	v_fmac_f32_e32 v59, v8, v6
	v_fma_f32 v62, v8, v7, -v9
	v_fma_f32 v6, v47, 2.0, -v4
	v_fma_f32 v7, v48, 2.0, -v5
	v_sub_f32_e32 v8, v39, v65
	v_sub_f32_e32 v9, v40, v60
	v_sub_f32_e32 v46, v41, v59
	v_sub_f32_e32 v47, v42, v62
	v_fma_f32 v39, v39, 2.0, -v8
	v_fma_f32 v40, v40, 2.0, -v9
	;; [unrolled: 1-line block ×4, first 2 shown]
	ds_write2_b64 v52, v[6:7], v[4:5] offset1:13
	ds_write2_b64 v57, v[39:40], v[8:9] offset1:13
	;; [unrolled: 1-line block ×6, first 2 shown]
	s_and_saveexec_b64 s[4:5], s[0:1]
	s_cbranch_execz .LBB0_17
; %bb.16:
	v_lshlrev_b32_e32 v4, 3, v45
	global_load_dwordx2 v[4:5], v4, s[12:13]
	s_waitcnt vmcnt(0)
	v_mul_f32_e32 v6, v2, v5
	v_mul_f32_e32 v5, v3, v5
	v_fma_f32 v3, v3, v4, -v6
	v_fmac_f32_e32 v5, v2, v4
	v_sub_f32_e32 v3, v1, v3
	v_sub_f32_e32 v2, v0, v5
	v_fma_f32 v1, v1, 2.0, -v3
	v_fma_f32 v0, v0, 2.0, -v2
	ds_write2_b64 v49, v[0:1], v[2:3] offset0:12 offset1:25
.LBB0_17:
	s_or_b64 exec, exec, s[4:5]
	s_waitcnt lgkmcnt(0)
	; wave barrier
	s_waitcnt lgkmcnt(0)
	ds_read_b64 v[2:3], v50
	v_sub_u32_e32 v4, v49, v51
                                        ; implicit-def: $vgpr1
                                        ; implicit-def: $vgpr5
	s_and_saveexec_b64 s[4:5], s[2:3]
	s_xor_b64 s[2:3], exec, s[4:5]
	s_cbranch_execz .LBB0_19
; %bb.18:
	global_load_dwordx2 v[6:7], v[33:34], off offset:104
	ds_read_b64 v[0:1], v4 offset:208
	s_waitcnt lgkmcnt(0)
	v_add_f32_e32 v8, v0, v2
	v_sub_f32_e32 v0, v2, v0
	v_add_f32_e32 v5, v1, v3
	v_sub_f32_e32 v1, v3, v1
	v_mul_f32_e32 v3, 0.5, v0
	v_mul_f32_e32 v0, 0.5, v1
	;; [unrolled: 1-line block ×3, first 2 shown]
	s_waitcnt vmcnt(0)
	v_mul_f32_e32 v1, v7, v3
	v_fma_f32 v9, 0.5, v8, v1
	v_fma_f32 v5, v2, v7, v0
	v_fma_f32 v7, v2, v7, -v0
	v_fma_f32 v0, v8, 0.5, -v1
	v_fmac_f32_e32 v9, v6, v2
	v_fma_f32 v5, -v6, v3, v5
	v_fma_f32 v0, -v6, v2, v0
	ds_write_b32 v50, v9
	v_fma_f32 v1, -v6, v3, v7
                                        ; implicit-def: $vgpr2_vgpr3
.LBB0_19:
	s_andn2_saveexec_b64 s[2:3], s[2:3]
	s_cbranch_execz .LBB0_21
; %bb.20:
	ds_read_b32 v1, v49 offset:108
	v_mov_b32_e32 v5, 0
	s_waitcnt lgkmcnt(1)
	v_add_f32_e32 v6, v2, v3
	v_sub_f32_e32 v0, v2, v3
	ds_write_b32 v50, v6
	s_waitcnt lgkmcnt(1)
	v_xor_b32_e32 v1, 0x80000000, v1
	ds_write_b32 v49, v1 offset:108
	v_mov_b32_e32 v1, v5
.LBB0_21:
	s_or_b64 exec, exec, s[2:3]
	s_waitcnt lgkmcnt(0)
	global_load_dwordx2 v[2:3], v[29:30], off offset:104
	global_load_dwordx2 v[6:7], v[26:27], off offset:104
	;; [unrolled: 1-line block ×3, first 2 shown]
	ds_write_b32 v50, v5 offset:4
	ds_write_b64 v4, v[0:1] offset:208
	ds_read_b64 v[0:1], v57
	ds_read_b64 v[10:11], v4 offset:192
	global_load_dwordx2 v[14:15], v[14:15], off offset:104
	s_waitcnt lgkmcnt(0)
	v_add_f32_e32 v5, v0, v10
	v_sub_f32_e32 v0, v0, v10
	v_add_f32_e32 v19, v1, v11
	v_sub_f32_e32 v1, v1, v11
	v_mul_f32_e32 v11, 0.5, v0
	v_mul_f32_e32 v10, 0.5, v19
	;; [unrolled: 1-line block ×3, first 2 shown]
	s_waitcnt vmcnt(3)
	v_mul_f32_e32 v19, v3, v11
	v_fma_f32 v1, v10, v3, v0
	v_fma_f32 v3, v10, v3, -v0
	v_fma_f32 v0, 0.5, v5, v19
	v_fma_f32 v1, -v2, v11, v1
	v_fma_f32 v5, v5, 0.5, -v19
	v_fmac_f32_e32 v0, v2, v10
	v_fma_f32 v3, -v2, v11, v3
	v_fma_f32 v2, -v2, v10, v5
	ds_write_b64 v57, v[0:1]
	ds_write_b64 v4, v[2:3] offset:192
	ds_read_b64 v[0:1], v56
	ds_read_b64 v[2:3], v4 offset:176
	global_load_dwordx2 v[10:11], v[12:13], off offset:104
	s_waitcnt lgkmcnt(0)
	v_add_f32_e32 v5, v0, v2
	v_sub_f32_e32 v0, v0, v2
	v_add_f32_e32 v12, v1, v3
	v_sub_f32_e32 v1, v1, v3
	v_mul_f32_e32 v3, 0.5, v0
	v_mul_f32_e32 v2, 0.5, v12
	v_mul_f32_e32 v0, 0.5, v1
	s_waitcnt vmcnt(3)
	v_mul_f32_e32 v12, v7, v3
	v_fma_f32 v1, v2, v7, v0
	v_fma_f32 v7, v2, v7, -v0
	v_fma_f32 v0, 0.5, v5, v12
	v_fma_f32 v1, -v6, v3, v1
	v_fma_f32 v5, v5, 0.5, -v12
	v_fmac_f32_e32 v0, v6, v2
	v_fma_f32 v3, -v6, v3, v7
	v_fma_f32 v2, -v6, v2, v5
	ds_write_b64 v56, v[0:1]
	ds_write_b64 v4, v[2:3] offset:176
	ds_read_b64 v[0:1], v55
	ds_read_b64 v[2:3], v4 offset:160
	s_waitcnt lgkmcnt(0)
	v_add_f32_e32 v5, v0, v2
	v_sub_f32_e32 v0, v0, v2
	v_add_f32_e32 v6, v1, v3
	v_sub_f32_e32 v1, v1, v3
	v_mul_f32_e32 v3, 0.5, v0
	v_mul_f32_e32 v2, 0.5, v6
	v_mul_f32_e32 v0, 0.5, v1
	s_waitcnt vmcnt(2)
	v_mul_f32_e32 v6, v9, v3
	v_fma_f32 v1, v2, v9, v0
	v_fma_f32 v7, v2, v9, -v0
	v_fma_f32 v0, 0.5, v5, v6
	v_fma_f32 v1, -v8, v3, v1
	v_fma_f32 v5, v5, 0.5, -v6
	v_fmac_f32_e32 v0, v8, v2
	v_fma_f32 v3, -v8, v3, v7
	v_fma_f32 v2, -v8, v2, v5
	ds_write_b64 v55, v[0:1]
	ds_write_b64 v4, v[2:3] offset:160
	ds_read_b64 v[0:1], v54
	ds_read_b64 v[2:3], v4 offset:144
	;; [unrolled: 22-line block ×3, first 2 shown]
	s_waitcnt lgkmcnt(0)
	v_add_f32_e32 v5, v0, v2
	v_sub_f32_e32 v0, v0, v2
	v_add_f32_e32 v6, v1, v3
	v_sub_f32_e32 v1, v1, v3
	v_mul_f32_e32 v3, 0.5, v0
	v_mul_f32_e32 v2, 0.5, v6
	;; [unrolled: 1-line block ×3, first 2 shown]
	s_waitcnt vmcnt(0)
	v_mul_f32_e32 v6, v11, v3
	v_fma_f32 v1, v2, v11, v0
	v_fma_f32 v7, v2, v11, -v0
	v_fma_f32 v0, 0.5, v5, v6
	v_fma_f32 v1, -v10, v3, v1
	v_fma_f32 v5, v5, 0.5, -v6
	v_fmac_f32_e32 v0, v10, v2
	v_fma_f32 v3, -v10, v3, v7
	v_fma_f32 v2, -v10, v2, v5
	ds_write_b64 v53, v[0:1]
	ds_write_b64 v4, v[2:3] offset:128
	s_and_saveexec_b64 s[2:3], s[0:1]
	s_cbranch_execz .LBB0_23
; %bb.22:
	ds_read2_b64 v[0:3], v49 offset0:12 offset1:14
	s_load_dwordx2 s[0:1], s[12:13], 0xc8
	s_waitcnt lgkmcnt(0)
	v_add_f32_e32 v4, v0, v2
	v_add_f32_e32 v5, v1, v3
	v_sub_f32_e32 v0, v0, v2
	v_sub_f32_e32 v1, v1, v3
	v_mul_f32_e32 v3, 0.5, v5
	v_mul_f32_e32 v5, 0.5, v0
	v_mul_f32_e32 v2, s1, v5
	v_mul_f32_e32 v6, 0.5, v1
	v_fma_f32 v0, 0.5, v4, v2
	v_fma_f32 v2, v4, 0.5, -v2
	v_fmac_f32_e32 v0, s0, v3
	v_fma_f32 v1, s1, v3, v6
	v_fma_f32 v2, -s0, v3, v2
	v_fma_f32 v3, v3, s1, -v6
	v_fma_f32 v1, -s0, v5, v1
	v_fma_f32 v3, -s0, v5, v3
	ds_write2_b64 v49, v[0:1], v[2:3] offset0:12 offset1:14
.LBB0_23:
	s_or_b64 exec, exec, s[2:3]
	s_waitcnt lgkmcnt(0)
	; wave barrier
	s_waitcnt lgkmcnt(0)
	s_and_saveexec_b64 s[0:1], vcc
	s_cbranch_execz .LBB0_26
; %bb.24:
	v_mul_lo_u32 v2, s9, v20
	v_mul_lo_u32 v3, s8, v21
	v_mad_u64_u32 v[0:1], s[0:1], s8, v20, 0
	v_mov_b32_e32 v19, 0
	v_lshlrev_b64 v[7:8], 3, v[18:19]
	v_add3_u32 v1, v1, v3, v2
	v_lshlrev_b64 v[0:1], 3, v[0:1]
	v_mov_b32_e32 v3, s11
	v_add_co_u32_e32 v4, vcc, s10, v0
	v_addc_co_u32_e32 v3, vcc, v3, v1, vcc
	v_lshlrev_b64 v[0:1], 3, v[16:17]
	v_lshl_add_u32 v2, v18, 3, v49
	v_add_co_u32_e32 v0, vcc, v4, v0
	v_addc_co_u32_e32 v1, vcc, v3, v1, vcc
	ds_read2_b64 v[3:6], v2 offset1:2
	v_add_co_u32_e32 v11, vcc, v0, v7
	v_addc_co_u32_e32 v12, vcc, v1, v8, vcc
	s_waitcnt lgkmcnt(0)
	global_store_dwordx2 v[11:12], v[3:4], off
	v_add_u32_e32 v3, 2, v18
	v_mov_b32_e32 v4, v19
	v_lshlrev_b64 v[3:4], 3, v[3:4]
	ds_read2_b64 v[7:10], v2 offset0:4 offset1:6
	v_add_co_u32_e32 v3, vcc, v0, v3
	v_addc_co_u32_e32 v4, vcc, v1, v4, vcc
	global_store_dwordx2 v[3:4], v[5:6], off
	v_add_u32_e32 v3, 4, v18
	v_mov_b32_e32 v4, v19
	v_lshlrev_b64 v[3:4], 3, v[3:4]
	v_add_co_u32_e32 v3, vcc, v0, v3
	v_addc_co_u32_e32 v4, vcc, v1, v4, vcc
	s_waitcnt lgkmcnt(0)
	global_store_dwordx2 v[3:4], v[7:8], off
	v_add_u32_e32 v3, 6, v18
	v_mov_b32_e32 v4, v19
	v_lshlrev_b64 v[3:4], 3, v[3:4]
	v_add_u32_e32 v7, 8, v18
	v_add_co_u32_e32 v3, vcc, v0, v3
	v_addc_co_u32_e32 v4, vcc, v1, v4, vcc
	global_store_dwordx2 v[3:4], v[9:10], off
	v_mov_b32_e32 v8, v19
	ds_read2_b64 v[3:6], v2 offset0:8 offset1:10
	v_lshlrev_b64 v[7:8], 3, v[7:8]
	v_add_co_u32_e32 v7, vcc, v0, v7
	v_addc_co_u32_e32 v8, vcc, v1, v8, vcc
	s_waitcnt lgkmcnt(0)
	global_store_dwordx2 v[7:8], v[3:4], off
	v_add_u32_e32 v3, 10, v18
	v_mov_b32_e32 v4, v19
	v_lshlrev_b64 v[3:4], 3, v[3:4]
	v_add_u32_e32 v7, 12, v18
	v_add_co_u32_e32 v3, vcc, v0, v3
	v_addc_co_u32_e32 v4, vcc, v1, v4, vcc
	global_store_dwordx2 v[3:4], v[5:6], off
	v_mov_b32_e32 v8, v19
	ds_read2_b64 v[3:6], v2 offset0:12 offset1:14
	;; [unrolled: 14-line block ×3, first 2 shown]
	v_lshlrev_b64 v[7:8], 3, v[7:8]
	v_add_co_u32_e32 v7, vcc, v0, v7
	v_addc_co_u32_e32 v8, vcc, v1, v8, vcc
	s_waitcnt lgkmcnt(0)
	global_store_dwordx2 v[7:8], v[3:4], off
	v_add_u32_e32 v3, 18, v18
	v_mov_b32_e32 v4, v19
	v_lshlrev_b64 v[3:4], 3, v[3:4]
	ds_read2_b64 v[7:10], v2 offset0:20 offset1:22
	ds_read_b64 v[11:12], v2 offset:192
	v_add_co_u32_e32 v3, vcc, v0, v3
	v_addc_co_u32_e32 v4, vcc, v1, v4, vcc
	global_store_dwordx2 v[3:4], v[5:6], off
	v_add_u32_e32 v3, 20, v18
	v_mov_b32_e32 v4, v19
	v_lshlrev_b64 v[3:4], 3, v[3:4]
	v_add_co_u32_e32 v3, vcc, v0, v3
	v_addc_co_u32_e32 v4, vcc, v1, v4, vcc
	s_waitcnt lgkmcnt(1)
	global_store_dwordx2 v[3:4], v[7:8], off
	v_add_u32_e32 v3, 22, v18
	v_mov_b32_e32 v4, v19
	v_lshlrev_b64 v[3:4], 3, v[3:4]
	v_add_co_u32_e32 v3, vcc, v0, v3
	v_addc_co_u32_e32 v4, vcc, v1, v4, vcc
	global_store_dwordx2 v[3:4], v[9:10], off
	v_add_u32_e32 v3, 24, v18
	v_mov_b32_e32 v4, v19
	v_lshlrev_b64 v[3:4], 3, v[3:4]
	v_add_co_u32_e32 v3, vcc, v0, v3
	v_addc_co_u32_e32 v4, vcc, v1, v4, vcc
	v_cmp_eq_u32_e32 vcc, 1, v18
	s_waitcnt lgkmcnt(0)
	global_store_dwordx2 v[3:4], v[11:12], off
	s_and_b64 exec, exec, vcc
	s_cbranch_execz .LBB0_26
; %bb.25:
	ds_read_b64 v[2:3], v2 offset:200
	s_waitcnt lgkmcnt(0)
	global_store_dwordx2 v[0:1], v[2:3], off offset:208
.LBB0_26:
	s_endpgm
	.section	.rodata,"a",@progbits
	.p2align	6, 0x0
	.amdhsa_kernel fft_rtc_back_len26_factors_13_2_wgs_64_tpt_2_halfLds_sp_op_CI_CI_unitstride_sbrr_R2C_dirReg
		.amdhsa_group_segment_fixed_size 0
		.amdhsa_private_segment_fixed_size 0
		.amdhsa_kernarg_size 104
		.amdhsa_user_sgpr_count 6
		.amdhsa_user_sgpr_private_segment_buffer 1
		.amdhsa_user_sgpr_dispatch_ptr 0
		.amdhsa_user_sgpr_queue_ptr 0
		.amdhsa_user_sgpr_kernarg_segment_ptr 1
		.amdhsa_user_sgpr_dispatch_id 0
		.amdhsa_user_sgpr_flat_scratch_init 0
		.amdhsa_user_sgpr_private_segment_size 0
		.amdhsa_uses_dynamic_stack 0
		.amdhsa_system_sgpr_private_segment_wavefront_offset 0
		.amdhsa_system_sgpr_workgroup_id_x 1
		.amdhsa_system_sgpr_workgroup_id_y 0
		.amdhsa_system_sgpr_workgroup_id_z 0
		.amdhsa_system_sgpr_workgroup_info 0
		.amdhsa_system_vgpr_workitem_id 0
		.amdhsa_next_free_vgpr 66
		.amdhsa_next_free_sgpr 28
		.amdhsa_reserve_vcc 1
		.amdhsa_reserve_flat_scratch 0
		.amdhsa_float_round_mode_32 0
		.amdhsa_float_round_mode_16_64 0
		.amdhsa_float_denorm_mode_32 3
		.amdhsa_float_denorm_mode_16_64 3
		.amdhsa_dx10_clamp 1
		.amdhsa_ieee_mode 1
		.amdhsa_fp16_overflow 0
		.amdhsa_exception_fp_ieee_invalid_op 0
		.amdhsa_exception_fp_denorm_src 0
		.amdhsa_exception_fp_ieee_div_zero 0
		.amdhsa_exception_fp_ieee_overflow 0
		.amdhsa_exception_fp_ieee_underflow 0
		.amdhsa_exception_fp_ieee_inexact 0
		.amdhsa_exception_int_div_zero 0
	.end_amdhsa_kernel
	.text
.Lfunc_end0:
	.size	fft_rtc_back_len26_factors_13_2_wgs_64_tpt_2_halfLds_sp_op_CI_CI_unitstride_sbrr_R2C_dirReg, .Lfunc_end0-fft_rtc_back_len26_factors_13_2_wgs_64_tpt_2_halfLds_sp_op_CI_CI_unitstride_sbrr_R2C_dirReg
                                        ; -- End function
	.section	.AMDGPU.csdata,"",@progbits
; Kernel info:
; codeLenInByte = 7052
; NumSgprs: 32
; NumVgprs: 66
; ScratchSize: 0
; MemoryBound: 0
; FloatMode: 240
; IeeeMode: 1
; LDSByteSize: 0 bytes/workgroup (compile time only)
; SGPRBlocks: 3
; VGPRBlocks: 16
; NumSGPRsForWavesPerEU: 32
; NumVGPRsForWavesPerEU: 66
; Occupancy: 3
; WaveLimiterHint : 1
; COMPUTE_PGM_RSRC2:SCRATCH_EN: 0
; COMPUTE_PGM_RSRC2:USER_SGPR: 6
; COMPUTE_PGM_RSRC2:TRAP_HANDLER: 0
; COMPUTE_PGM_RSRC2:TGID_X_EN: 1
; COMPUTE_PGM_RSRC2:TGID_Y_EN: 0
; COMPUTE_PGM_RSRC2:TGID_Z_EN: 0
; COMPUTE_PGM_RSRC2:TIDIG_COMP_CNT: 0
	.type	__hip_cuid_afae237e675c51a9,@object ; @__hip_cuid_afae237e675c51a9
	.section	.bss,"aw",@nobits
	.globl	__hip_cuid_afae237e675c51a9
__hip_cuid_afae237e675c51a9:
	.byte	0                               ; 0x0
	.size	__hip_cuid_afae237e675c51a9, 1

	.ident	"AMD clang version 19.0.0git (https://github.com/RadeonOpenCompute/llvm-project roc-6.4.0 25133 c7fe45cf4b819c5991fe208aaa96edf142730f1d)"
	.section	".note.GNU-stack","",@progbits
	.addrsig
	.addrsig_sym __hip_cuid_afae237e675c51a9
	.amdgpu_metadata
---
amdhsa.kernels:
  - .args:
      - .actual_access:  read_only
        .address_space:  global
        .offset:         0
        .size:           8
        .value_kind:     global_buffer
      - .offset:         8
        .size:           8
        .value_kind:     by_value
      - .actual_access:  read_only
        .address_space:  global
        .offset:         16
        .size:           8
        .value_kind:     global_buffer
      - .actual_access:  read_only
        .address_space:  global
        .offset:         24
        .size:           8
        .value_kind:     global_buffer
      - .actual_access:  read_only
        .address_space:  global
        .offset:         32
        .size:           8
        .value_kind:     global_buffer
      - .offset:         40
        .size:           8
        .value_kind:     by_value
      - .actual_access:  read_only
        .address_space:  global
        .offset:         48
        .size:           8
        .value_kind:     global_buffer
      - .actual_access:  read_only
        .address_space:  global
        .offset:         56
        .size:           8
        .value_kind:     global_buffer
      - .offset:         64
        .size:           4
        .value_kind:     by_value
      - .actual_access:  read_only
        .address_space:  global
        .offset:         72
        .size:           8
        .value_kind:     global_buffer
      - .actual_access:  read_only
        .address_space:  global
        .offset:         80
        .size:           8
        .value_kind:     global_buffer
      - .actual_access:  read_only
        .address_space:  global
        .offset:         88
        .size:           8
        .value_kind:     global_buffer
      - .actual_access:  write_only
        .address_space:  global
        .offset:         96
        .size:           8
        .value_kind:     global_buffer
    .group_segment_fixed_size: 0
    .kernarg_segment_align: 8
    .kernarg_segment_size: 104
    .language:       OpenCL C
    .language_version:
      - 2
      - 0
    .max_flat_workgroup_size: 64
    .name:           fft_rtc_back_len26_factors_13_2_wgs_64_tpt_2_halfLds_sp_op_CI_CI_unitstride_sbrr_R2C_dirReg
    .private_segment_fixed_size: 0
    .sgpr_count:     32
    .sgpr_spill_count: 0
    .symbol:         fft_rtc_back_len26_factors_13_2_wgs_64_tpt_2_halfLds_sp_op_CI_CI_unitstride_sbrr_R2C_dirReg.kd
    .uniform_work_group_size: 1
    .uses_dynamic_stack: false
    .vgpr_count:     66
    .vgpr_spill_count: 0
    .wavefront_size: 64
amdhsa.target:   amdgcn-amd-amdhsa--gfx906
amdhsa.version:
  - 1
  - 2
...

	.end_amdgpu_metadata
